;; amdgpu-corpus repo=ROCm/flash-attention kind=compiled arch=gfx90a opt=O3
	.text
	.amdgcn_target "amdgcn-amd-amdhsa--gfx90a"
	.amdhsa_code_object_version 6
	.section	.text._ZN7ck_tileL11flush_cacheEv,"axG",@progbits,_ZN7ck_tileL11flush_cacheEv,comdat
	.globl	_ZN7ck_tileL11flush_cacheEv     ; -- Begin function _ZN7ck_tileL11flush_cacheEv
	.p2align	8
	.type	_ZN7ck_tileL11flush_cacheEv,@function
_ZN7ck_tileL11flush_cacheEv:            ; @_ZN7ck_tileL11flush_cacheEv
; %bb.0:
	;;#ASMSTART
	s_icache_inv 
	s_nop 0 
	s_nop 0 
	;; [unrolled: 1-line block ×16, first 2 shown]
	
	;;#ASMEND
	s_endpgm
	.section	.rodata,"a",@progbits
	.p2align	6, 0x0
	.amdhsa_kernel _ZN7ck_tileL11flush_cacheEv
		.amdhsa_group_segment_fixed_size 0
		.amdhsa_private_segment_fixed_size 0
		.amdhsa_kernarg_size 0
		.amdhsa_user_sgpr_count 4
		.amdhsa_user_sgpr_private_segment_buffer 1
		.amdhsa_user_sgpr_dispatch_ptr 0
		.amdhsa_user_sgpr_queue_ptr 0
		.amdhsa_user_sgpr_kernarg_segment_ptr 0
		.amdhsa_user_sgpr_dispatch_id 0
		.amdhsa_user_sgpr_flat_scratch_init 0
		.amdhsa_user_sgpr_kernarg_preload_length 0
		.amdhsa_user_sgpr_kernarg_preload_offset 0
		.amdhsa_user_sgpr_private_segment_size 0
		.amdhsa_uses_dynamic_stack 0
		.amdhsa_system_sgpr_private_segment_wavefront_offset 0
		.amdhsa_system_sgpr_workgroup_id_x 1
		.amdhsa_system_sgpr_workgroup_id_y 0
		.amdhsa_system_sgpr_workgroup_id_z 0
		.amdhsa_system_sgpr_workgroup_info 0
		.amdhsa_system_vgpr_workitem_id 0
		.amdhsa_next_free_vgpr 1
		.amdhsa_next_free_sgpr 0
		.amdhsa_accum_offset 4
		.amdhsa_reserve_vcc 0
		.amdhsa_reserve_flat_scratch 0
		.amdhsa_float_round_mode_32 0
		.amdhsa_float_round_mode_16_64 0
		.amdhsa_float_denorm_mode_32 0
		.amdhsa_float_denorm_mode_16_64 3
		.amdhsa_dx10_clamp 1
		.amdhsa_ieee_mode 1
		.amdhsa_fp16_overflow 0
		.amdhsa_tg_split 0
		.amdhsa_exception_fp_ieee_invalid_op 0
		.amdhsa_exception_fp_denorm_src 0
		.amdhsa_exception_fp_ieee_div_zero 0
		.amdhsa_exception_fp_ieee_overflow 0
		.amdhsa_exception_fp_ieee_underflow 0
		.amdhsa_exception_fp_ieee_inexact 0
		.amdhsa_exception_int_div_zero 0
	.end_amdhsa_kernel
	.section	.text._ZN7ck_tileL11flush_cacheEv,"axG",@progbits,_ZN7ck_tileL11flush_cacheEv,comdat
.Lfunc_end0:
	.size	_ZN7ck_tileL11flush_cacheEv, .Lfunc_end0-_ZN7ck_tileL11flush_cacheEv
                                        ; -- End function
	.section	.AMDGPU.csdata,"",@progbits
; Kernel info:
; codeLenInByte = 140
; NumSgprs: 4
; NumVgprs: 0
; NumAgprs: 0
; TotalNumVgprs: 0
; ScratchSize: 0
; MemoryBound: 0
; FloatMode: 192
; IeeeMode: 1
; LDSByteSize: 0 bytes/workgroup (compile time only)
; SGPRBlocks: 0
; VGPRBlocks: 0
; NumSGPRsForWavesPerEU: 4
; NumVGPRsForWavesPerEU: 1
; AccumOffset: 4
; Occupancy: 8
; WaveLimiterHint : 0
; COMPUTE_PGM_RSRC2:SCRATCH_EN: 0
; COMPUTE_PGM_RSRC2:USER_SGPR: 4
; COMPUTE_PGM_RSRC2:TRAP_HANDLER: 0
; COMPUTE_PGM_RSRC2:TGID_X_EN: 1
; COMPUTE_PGM_RSRC2:TGID_Y_EN: 0
; COMPUTE_PGM_RSRC2:TGID_Z_EN: 0
; COMPUTE_PGM_RSRC2:TIDIG_COMP_CNT: 0
; COMPUTE_PGM_RSRC3_GFX90A:ACCUM_OFFSET: 0
; COMPUTE_PGM_RSRC3_GFX90A:TG_SPLIT: 0
	.section	.text._ZN7ck_tile6kentryINS_6gfx9_tELi2ENS_25FmhaBwdConvertQGradKernelINS_24BlockFmhaBwdConvertQGradINS_39BlockFmhaBwdConvertQGradPipelineProblemIftLi256ELi64ELi0ELi32ELb0ELb0ENS_29TileFmhaBwdConvertQGradTraitsILb0ELb0ELi2EEEEENS_33BlockFmhaBwdPipelineDefaultPolicyEEEEEJNSA_33FmhaBwdConvertQGradBatchModeKargsEEEENSt9enable_ifIXnt26kattr_no_packed_fp32_ops_vIT_EEvE4typeEDpT2_,"axG",@progbits,_ZN7ck_tile6kentryINS_6gfx9_tELi2ENS_25FmhaBwdConvertQGradKernelINS_24BlockFmhaBwdConvertQGradINS_39BlockFmhaBwdConvertQGradPipelineProblemIftLi256ELi64ELi0ELi32ELb0ELb0ENS_29TileFmhaBwdConvertQGradTraitsILb0ELb0ELi2EEEEENS_33BlockFmhaBwdPipelineDefaultPolicyEEEEEJNSA_33FmhaBwdConvertQGradBatchModeKargsEEEENSt9enable_ifIXnt26kattr_no_packed_fp32_ops_vIT_EEvE4typeEDpT2_,comdat
	.protected	_ZN7ck_tile6kentryINS_6gfx9_tELi2ENS_25FmhaBwdConvertQGradKernelINS_24BlockFmhaBwdConvertQGradINS_39BlockFmhaBwdConvertQGradPipelineProblemIftLi256ELi64ELi0ELi32ELb0ELb0ENS_29TileFmhaBwdConvertQGradTraitsILb0ELb0ELi2EEEEENS_33BlockFmhaBwdPipelineDefaultPolicyEEEEEJNSA_33FmhaBwdConvertQGradBatchModeKargsEEEENSt9enable_ifIXnt26kattr_no_packed_fp32_ops_vIT_EEvE4typeEDpT2_ ; -- Begin function _ZN7ck_tile6kentryINS_6gfx9_tELi2ENS_25FmhaBwdConvertQGradKernelINS_24BlockFmhaBwdConvertQGradINS_39BlockFmhaBwdConvertQGradPipelineProblemIftLi256ELi64ELi0ELi32ELb0ELb0ENS_29TileFmhaBwdConvertQGradTraitsILb0ELb0ELi2EEEEENS_33BlockFmhaBwdPipelineDefaultPolicyEEEEEJNSA_33FmhaBwdConvertQGradBatchModeKargsEEEENSt9enable_ifIXnt26kattr_no_packed_fp32_ops_vIT_EEvE4typeEDpT2_
	.globl	_ZN7ck_tile6kentryINS_6gfx9_tELi2ENS_25FmhaBwdConvertQGradKernelINS_24BlockFmhaBwdConvertQGradINS_39BlockFmhaBwdConvertQGradPipelineProblemIftLi256ELi64ELi0ELi32ELb0ELb0ENS_29TileFmhaBwdConvertQGradTraitsILb0ELb0ELi2EEEEENS_33BlockFmhaBwdPipelineDefaultPolicyEEEEEJNSA_33FmhaBwdConvertQGradBatchModeKargsEEEENSt9enable_ifIXnt26kattr_no_packed_fp32_ops_vIT_EEvE4typeEDpT2_
	.p2align	8
	.type	_ZN7ck_tile6kentryINS_6gfx9_tELi2ENS_25FmhaBwdConvertQGradKernelINS_24BlockFmhaBwdConvertQGradINS_39BlockFmhaBwdConvertQGradPipelineProblemIftLi256ELi64ELi0ELi32ELb0ELb0ENS_29TileFmhaBwdConvertQGradTraitsILb0ELb0ELi2EEEEENS_33BlockFmhaBwdPipelineDefaultPolicyEEEEEJNSA_33FmhaBwdConvertQGradBatchModeKargsEEEENSt9enable_ifIXnt26kattr_no_packed_fp32_ops_vIT_EEvE4typeEDpT2_,@function
_ZN7ck_tile6kentryINS_6gfx9_tELi2ENS_25FmhaBwdConvertQGradKernelINS_24BlockFmhaBwdConvertQGradINS_39BlockFmhaBwdConvertQGradPipelineProblemIftLi256ELi64ELi0ELi32ELb0ELb0ENS_29TileFmhaBwdConvertQGradTraitsILb0ELb0ELi2EEEEENS_33BlockFmhaBwdPipelineDefaultPolicyEEEEEJNSA_33FmhaBwdConvertQGradBatchModeKargsEEEENSt9enable_ifIXnt26kattr_no_packed_fp32_ops_vIT_EEvE4typeEDpT2_: ; @_ZN7ck_tile6kentryINS_6gfx9_tELi2ENS_25FmhaBwdConvertQGradKernelINS_24BlockFmhaBwdConvertQGradINS_39BlockFmhaBwdConvertQGradPipelineProblemIftLi256ELi64ELi0ELi32ELb0ELb0ENS_29TileFmhaBwdConvertQGradTraitsILb0ELb0ELi2EEEEENS_33BlockFmhaBwdPipelineDefaultPolicyEEEEEJNSA_33FmhaBwdConvertQGradBatchModeKargsEEEENSt9enable_ifIXnt26kattr_no_packed_fp32_ops_vIT_EEvE4typeEDpT2_
; %bb.0:
	s_load_dwordx4 s[12:15], s[4:5], 0x0
	s_load_dword s18, s[4:5], 0x10
	s_load_dword s9, s[4:5], 0x30
	s_load_dwordx4 s[0:3], s[4:5], 0x18
	s_load_dwordx2 s[10:11], s[4:5], 0x28
	s_load_dwordx2 s[16:17], s[4:5], 0x38
	s_lshl_b32 s19, s6, 6
	s_ashr_i32 s6, s8, 31
	s_waitcnt lgkmcnt(0)
	s_mul_hi_i32 s5, s9, s8
	s_mul_i32 s4, s9, s8
	s_mul_hi_u32 s9, s16, s8
	s_mul_i32 s6, s16, s6
	s_add_i32 s6, s9, s6
	s_mul_i32 s9, s17, s8
	s_mul_i32 s8, s16, s8
	s_mul_hi_i32 s17, s3, s7
	s_mul_i32 s16, s3, s7
	s_add_i32 s9, s6, s9
	s_ashr_i32 s6, s7, 31
	s_lshl_b64 s[16:17], s[16:17], 1
	s_add_u32 s3, s14, s16
	s_addc_u32 s14, s15, s17
	s_lshl_b64 s[4:5], s[4:5], 1
	s_add_u32 s4, s3, s4
	s_mul_hi_u32 s3, s10, s7
	s_mul_i32 s6, s10, s6
	s_addc_u32 s5, s14, s5
	s_add_i32 s3, s3, s6
	s_mul_i32 s6, s11, s7
	s_add_i32 s11, s3, s6
	s_mul_i32 s10, s10, s7
	s_lshl_b64 s[6:7], s[10:11], 2
	s_add_u32 s3, s12, s6
	s_addc_u32 s10, s13, s7
	s_lshl_b64 s[6:7], s[8:9], 2
	s_add_u32 s8, s3, s6
	s_addc_u32 s9, s10, s7
	s_add_i32 s18, s18, -1
	s_add_u32 s6, 0, 0
	v_lshrrev_b32_e32 v0, 6, v0
	v_readfirstlane_b32 s6, v0
	v_mbcnt_lo_u32_b32 v0, -1, 0
	s_addc_u32 s0, s0, -1
	v_mbcnt_hi_u32_b32 v0, -1, v0
	s_lshl_b32 s6, s6, 3
	v_lshrrev_b32_e32 v1, 3, v0
	s_add_i32 s6, s6, s19
	s_mul_i32 s3, s2, s18
	s_add_i32 s0, s0, 1
	v_lshlrev_b32_e32 v0, 2, v0
	v_add_u32_e32 v9, s6, v1
	s_add_i32 s3, s3, s0
	v_and_b32_e32 v8, 28, v0
	v_mul_lo_u32 v0, v9, s2
	v_add_lshl_u32 v4, v0, v8, 2
	s_lshl_b32 s10, s3, 2
	s_mov_b32 s11, 0x20000
	buffer_load_dwordx4 v[0:3], v4, s[8:11], 0 offen
	v_lshl_add_u32 v4, s2, 7, v4
	s_mul_i32 s2, s1, s18
	s_add_i32 s2, s2, s0
	v_mul_lo_u32 v9, v9, s1
	buffer_load_dwordx4 v[4:7], v4, s[8:11], 0 offen
	v_mov_b32_e32 v10, 0x7fff
	v_mov_b32_e32 v11, 0x7fff0000
	s_lshl_b32 s6, s2, 1
	v_add_lshl_u32 v8, v9, v8, 1
	s_waitcnt vmcnt(1)
	;;#ASMSTART
	
             v_cmp_u_f32 s[2:3], v0, v0 
             v_bfe_u32 v9, v0, 16, 1 
             v_add3_u32 v9, v0, v9, v10 
             v_cndmask_b32 v0, v9, v11, s[2:3] 
             v_lshrrev_b32 v0, 16, v0 
             
	;;#ASMEND
	;;#ASMSTART
	
             v_cmp_u_f32 s[2:3], v1, v1 
             v_bfe_u32 v9, v1, 16, 1 
             v_add3_u32 v9, v1, v9, v10 
             v_cndmask_b32 v1, v9, v11, s[2:3] 
             v_lshrrev_b32 v1, 16, v1 
             
	;;#ASMEND
	;; [unrolled: 9-line block ×4, first 2 shown]
	v_and_b32_e32 v2, 0xffff, v2
	v_and_b32_e32 v0, 0xffff, v0
	s_mov_b32 s7, s11
	s_waitcnt vmcnt(0)
	;;#ASMSTART
	
             v_cmp_u_f32 s[2:3], v4, v4 
             v_bfe_u32 v9, v4, 16, 1 
             v_add3_u32 v9, v4, v9, v10 
             v_cndmask_b32 v4, v9, v11, s[2:3] 
             v_lshrrev_b32 v4, 16, v4 
             
	;;#ASMEND
	;;#ASMSTART
	
             v_cmp_u_f32 s[2:3], v5, v5 
             v_bfe_u32 v9, v5, 16, 1 
             v_add3_u32 v9, v5, v9, v10 
             v_cndmask_b32 v5, v9, v11, s[2:3] 
             v_lshrrev_b32 v5, 16, v5 
             
	;;#ASMEND
	;; [unrolled: 9-line block ×3, first 2 shown]
	v_lshl_or_b32 v0, v1, 16, v0
	v_lshl_or_b32 v1, v3, 16, v2
	v_and_b32_e32 v2, 0xffff, v6
	v_and_b32_e32 v3, 0xffff, v4
	;;#ASMSTART
	
             v_cmp_u_f32 s[2:3], v7, v7 
             v_bfe_u32 v9, v7, 16, 1 
             v_add3_u32 v9, v7, v9, v10 
             v_cndmask_b32 v7, v9, v11, s[2:3] 
             v_lshrrev_b32 v7, 16, v7 
             
	;;#ASMEND
	buffer_store_dwordx2 v[0:1], v8, s[4:7], 0 offen
	v_lshl_or_b32 v0, v5, 16, v3
	v_lshl_or_b32 v1, v7, 16, v2
	v_lshl_add_u32 v2, s1, 6, v8
	buffer_store_dwordx2 v[0:1], v2, s[4:7], 0 offen
	s_endpgm
	.section	.rodata,"a",@progbits
	.p2align	6, 0x0
	.amdhsa_kernel _ZN7ck_tile6kentryINS_6gfx9_tELi2ENS_25FmhaBwdConvertQGradKernelINS_24BlockFmhaBwdConvertQGradINS_39BlockFmhaBwdConvertQGradPipelineProblemIftLi256ELi64ELi0ELi32ELb0ELb0ENS_29TileFmhaBwdConvertQGradTraitsILb0ELb0ELi2EEEEENS_33BlockFmhaBwdPipelineDefaultPolicyEEEEEJNSA_33FmhaBwdConvertQGradBatchModeKargsEEEENSt9enable_ifIXnt26kattr_no_packed_fp32_ops_vIT_EEvE4typeEDpT2_
		.amdhsa_group_segment_fixed_size 0
		.amdhsa_private_segment_fixed_size 0
		.amdhsa_kernarg_size 64
		.amdhsa_user_sgpr_count 6
		.amdhsa_user_sgpr_private_segment_buffer 1
		.amdhsa_user_sgpr_dispatch_ptr 0
		.amdhsa_user_sgpr_queue_ptr 0
		.amdhsa_user_sgpr_kernarg_segment_ptr 1
		.amdhsa_user_sgpr_dispatch_id 0
		.amdhsa_user_sgpr_flat_scratch_init 0
		.amdhsa_user_sgpr_kernarg_preload_length 0
		.amdhsa_user_sgpr_kernarg_preload_offset 0
		.amdhsa_user_sgpr_private_segment_size 0
		.amdhsa_uses_dynamic_stack 0
		.amdhsa_system_sgpr_private_segment_wavefront_offset 0
		.amdhsa_system_sgpr_workgroup_id_x 1
		.amdhsa_system_sgpr_workgroup_id_y 1
		.amdhsa_system_sgpr_workgroup_id_z 1
		.amdhsa_system_sgpr_workgroup_info 0
		.amdhsa_system_vgpr_workitem_id 0
		.amdhsa_next_free_vgpr 12
		.amdhsa_next_free_sgpr 20
		.amdhsa_accum_offset 12
		.amdhsa_reserve_vcc 0
		.amdhsa_reserve_flat_scratch 0
		.amdhsa_float_round_mode_32 0
		.amdhsa_float_round_mode_16_64 0
		.amdhsa_float_denorm_mode_32 0
		.amdhsa_float_denorm_mode_16_64 3
		.amdhsa_dx10_clamp 1
		.amdhsa_ieee_mode 1
		.amdhsa_fp16_overflow 0
		.amdhsa_tg_split 0
		.amdhsa_exception_fp_ieee_invalid_op 0
		.amdhsa_exception_fp_denorm_src 0
		.amdhsa_exception_fp_ieee_div_zero 0
		.amdhsa_exception_fp_ieee_overflow 0
		.amdhsa_exception_fp_ieee_underflow 0
		.amdhsa_exception_fp_ieee_inexact 0
		.amdhsa_exception_int_div_zero 0
	.end_amdhsa_kernel
	.section	.text._ZN7ck_tile6kentryINS_6gfx9_tELi2ENS_25FmhaBwdConvertQGradKernelINS_24BlockFmhaBwdConvertQGradINS_39BlockFmhaBwdConvertQGradPipelineProblemIftLi256ELi64ELi0ELi32ELb0ELb0ENS_29TileFmhaBwdConvertQGradTraitsILb0ELb0ELi2EEEEENS_33BlockFmhaBwdPipelineDefaultPolicyEEEEEJNSA_33FmhaBwdConvertQGradBatchModeKargsEEEENSt9enable_ifIXnt26kattr_no_packed_fp32_ops_vIT_EEvE4typeEDpT2_,"axG",@progbits,_ZN7ck_tile6kentryINS_6gfx9_tELi2ENS_25FmhaBwdConvertQGradKernelINS_24BlockFmhaBwdConvertQGradINS_39BlockFmhaBwdConvertQGradPipelineProblemIftLi256ELi64ELi0ELi32ELb0ELb0ENS_29TileFmhaBwdConvertQGradTraitsILb0ELb0ELi2EEEEENS_33BlockFmhaBwdPipelineDefaultPolicyEEEEEJNSA_33FmhaBwdConvertQGradBatchModeKargsEEEENSt9enable_ifIXnt26kattr_no_packed_fp32_ops_vIT_EEvE4typeEDpT2_,comdat
.Lfunc_end1:
	.size	_ZN7ck_tile6kentryINS_6gfx9_tELi2ENS_25FmhaBwdConvertQGradKernelINS_24BlockFmhaBwdConvertQGradINS_39BlockFmhaBwdConvertQGradPipelineProblemIftLi256ELi64ELi0ELi32ELb0ELb0ENS_29TileFmhaBwdConvertQGradTraitsILb0ELb0ELi2EEEEENS_33BlockFmhaBwdPipelineDefaultPolicyEEEEEJNSA_33FmhaBwdConvertQGradBatchModeKargsEEEENSt9enable_ifIXnt26kattr_no_packed_fp32_ops_vIT_EEvE4typeEDpT2_, .Lfunc_end1-_ZN7ck_tile6kentryINS_6gfx9_tELi2ENS_25FmhaBwdConvertQGradKernelINS_24BlockFmhaBwdConvertQGradINS_39BlockFmhaBwdConvertQGradPipelineProblemIftLi256ELi64ELi0ELi32ELb0ELb0ENS_29TileFmhaBwdConvertQGradTraitsILb0ELb0ELi2EEEEENS_33BlockFmhaBwdPipelineDefaultPolicyEEEEEJNSA_33FmhaBwdConvertQGradBatchModeKargsEEEENSt9enable_ifIXnt26kattr_no_packed_fp32_ops_vIT_EEvE4typeEDpT2_
                                        ; -- End function
	.section	.AMDGPU.csdata,"",@progbits
; Kernel info:
; codeLenInByte = 768
; NumSgprs: 24
; NumVgprs: 12
; NumAgprs: 0
; TotalNumVgprs: 12
; ScratchSize: 0
; MemoryBound: 0
; FloatMode: 192
; IeeeMode: 1
; LDSByteSize: 0 bytes/workgroup (compile time only)
; SGPRBlocks: 2
; VGPRBlocks: 1
; NumSGPRsForWavesPerEU: 24
; NumVGPRsForWavesPerEU: 12
; AccumOffset: 12
; Occupancy: 8
; WaveLimiterHint : 0
; COMPUTE_PGM_RSRC2:SCRATCH_EN: 0
; COMPUTE_PGM_RSRC2:USER_SGPR: 6
; COMPUTE_PGM_RSRC2:TRAP_HANDLER: 0
; COMPUTE_PGM_RSRC2:TGID_X_EN: 1
; COMPUTE_PGM_RSRC2:TGID_Y_EN: 1
; COMPUTE_PGM_RSRC2:TGID_Z_EN: 1
; COMPUTE_PGM_RSRC2:TIDIG_COMP_CNT: 0
; COMPUTE_PGM_RSRC3_GFX90A:ACCUM_OFFSET: 2
; COMPUTE_PGM_RSRC3_GFX90A:TG_SPLIT: 0
	.text
	.p2alignl 6, 3212836864
	.fill 256, 4, 3212836864
	.type	__hip_cuid_2d685b51dcb29986,@object ; @__hip_cuid_2d685b51dcb29986
	.section	.bss,"aw",@nobits
	.globl	__hip_cuid_2d685b51dcb29986
__hip_cuid_2d685b51dcb29986:
	.byte	0                               ; 0x0
	.size	__hip_cuid_2d685b51dcb29986, 1

	.ident	"AMD clang version 19.0.0git (https://github.com/RadeonOpenCompute/llvm-project roc-6.4.0 25133 c7fe45cf4b819c5991fe208aaa96edf142730f1d)"
	.section	".note.GNU-stack","",@progbits
	.addrsig
	.addrsig_sym __hip_cuid_2d685b51dcb29986
	.amdgpu_metadata
---
amdhsa.kernels:
  - .agpr_count:     0
    .args:           []
    .group_segment_fixed_size: 0
    .kernarg_segment_align: 4
    .kernarg_segment_size: 0
    .language:       OpenCL C
    .language_version:
      - 2
      - 0
    .max_flat_workgroup_size: 1024
    .name:           _ZN7ck_tileL11flush_cacheEv
    .private_segment_fixed_size: 0
    .sgpr_count:     4
    .sgpr_spill_count: 0
    .symbol:         _ZN7ck_tileL11flush_cacheEv.kd
    .uses_dynamic_stack: false
    .vgpr_count:     0
    .vgpr_spill_count: 0
    .wavefront_size: 64
  - .agpr_count:     0
    .args:
      - .offset:         0
        .size:           64
        .value_kind:     by_value
    .group_segment_fixed_size: 0
    .kernarg_segment_align: 8
    .kernarg_segment_size: 64
    .language:       OpenCL C
    .language_version:
      - 2
      - 0
    .max_flat_workgroup_size: 256
    .name:           _ZN7ck_tile6kentryINS_6gfx9_tELi2ENS_25FmhaBwdConvertQGradKernelINS_24BlockFmhaBwdConvertQGradINS_39BlockFmhaBwdConvertQGradPipelineProblemIftLi256ELi64ELi0ELi32ELb0ELb0ENS_29TileFmhaBwdConvertQGradTraitsILb0ELb0ELi2EEEEENS_33BlockFmhaBwdPipelineDefaultPolicyEEEEEJNSA_33FmhaBwdConvertQGradBatchModeKargsEEEENSt9enable_ifIXnt26kattr_no_packed_fp32_ops_vIT_EEvE4typeEDpT2_
    .private_segment_fixed_size: 0
    .sgpr_count:     24
    .sgpr_spill_count: 0
    .symbol:         _ZN7ck_tile6kentryINS_6gfx9_tELi2ENS_25FmhaBwdConvertQGradKernelINS_24BlockFmhaBwdConvertQGradINS_39BlockFmhaBwdConvertQGradPipelineProblemIftLi256ELi64ELi0ELi32ELb0ELb0ENS_29TileFmhaBwdConvertQGradTraitsILb0ELb0ELi2EEEEENS_33BlockFmhaBwdPipelineDefaultPolicyEEEEEJNSA_33FmhaBwdConvertQGradBatchModeKargsEEEENSt9enable_ifIXnt26kattr_no_packed_fp32_ops_vIT_EEvE4typeEDpT2_.kd
    .uses_dynamic_stack: false
    .vgpr_count:     12
    .vgpr_spill_count: 0
    .wavefront_size: 64
amdhsa.target:   amdgcn-amd-amdhsa--gfx90a
amdhsa.version:
  - 1
  - 2
...

	.end_amdgpu_metadata
